;; amdgpu-corpus repo=ROCm/rocFFT kind=compiled arch=gfx1201 opt=O3
	.text
	.amdgcn_target "amdgcn-amd-amdhsa--gfx1201"
	.amdhsa_code_object_version 6
	.protected	bluestein_single_back_len63_dim1_half_op_CI_CI ; -- Begin function bluestein_single_back_len63_dim1_half_op_CI_CI
	.globl	bluestein_single_back_len63_dim1_half_op_CI_CI
	.p2align	8
	.type	bluestein_single_back_len63_dim1_half_op_CI_CI,@function
bluestein_single_back_len63_dim1_half_op_CI_CI: ; @bluestein_single_back_len63_dim1_half_op_CI_CI
; %bb.0:
	s_load_b128 s[8:11], s[0:1], 0x28
	v_mul_u32_u24_e32 v1, 0xc31, v0
	s_mov_b32 s2, exec_lo
	s_delay_alu instid0(VALU_DEP_1) | instskip(NEXT) | instid1(VALU_DEP_1)
	v_lshrrev_b32_e32 v1, 16, v1
	v_mad_co_u64_u32 v[4:5], null, ttmp9, 12, v[1:2]
	v_mov_b32_e32 v5, 0
	s_wait_kmcnt 0x0
	s_delay_alu instid0(VALU_DEP_1)
	v_cmpx_gt_u64_e64 s[8:9], v[4:5]
	s_cbranch_execz .LBB0_10
; %bb.1:
	s_load_b128 s[4:7], s[0:1], 0x18
	v_mul_lo_u16 v1, v1, 21
                                        ; implicit-def: $vgpr42
                                        ; implicit-def: $vgpr16
                                        ; implicit-def: $vgpr40
                                        ; implicit-def: $vgpr41
                                        ; implicit-def: $vgpr44
                                        ; implicit-def: $vgpr43
	s_delay_alu instid0(VALU_DEP_1) | instskip(NEXT) | instid1(VALU_DEP_1)
	v_sub_nc_u16 v8, v0, v1
	v_and_b32_e32 v17, 0xffff, v8
	s_delay_alu instid0(VALU_DEP_1)
	v_lshlrev_b32_e32 v26, 2, v17
	s_wait_kmcnt 0x0
	s_load_b128 s[12:15], s[4:5], 0x0
	s_wait_kmcnt 0x0
	v_mad_co_u64_u32 v[0:1], null, s14, v4, 0
	v_mad_co_u64_u32 v[2:3], null, s12, v17, 0
	s_mul_i32 s2, s13, 0x54
	s_delay_alu instid0(VALU_DEP_1) | instskip(NEXT) | instid1(VALU_DEP_2)
	v_mad_co_u64_u32 v[5:6], null, s15, v4, v[1:2]
	v_mad_co_u64_u32 v[6:7], null, s13, v17, v[3:4]
	s_delay_alu instid0(VALU_DEP_2) | instskip(NEXT) | instid1(VALU_DEP_2)
	v_mov_b32_e32 v1, v5
	v_mov_b32_e32 v3, v6
	s_delay_alu instid0(VALU_DEP_2) | instskip(NEXT) | instid1(VALU_DEP_2)
	v_lshlrev_b64_e32 v[0:1], 2, v[0:1]
	v_lshlrev_b64_e32 v[2:3], 2, v[2:3]
	s_delay_alu instid0(VALU_DEP_2) | instskip(NEXT) | instid1(VALU_DEP_3)
	v_add_co_u32 v0, vcc_lo, s10, v0
	v_add_co_ci_u32_e32 v1, vcc_lo, s11, v1, vcc_lo
	s_load_b128 s[8:11], s[0:1], 0x0
	s_delay_alu instid0(VALU_DEP_2) | instskip(SKIP_1) | instid1(VALU_DEP_2)
	v_add_co_u32 v0, vcc_lo, v0, v2
	s_wait_alu 0xfffd
	v_add_co_ci_u32_e32 v1, vcc_lo, v1, v3, vcc_lo
	v_cmp_gt_u16_e32 vcc_lo, 9, v8
	s_load_b64 s[0:1], s[0:1], 0x38
	s_delay_alu instid0(VALU_DEP_2) | instskip(SKIP_4) | instid1(VALU_DEP_1)
	v_mad_co_u64_u32 v[2:3], null, 0x54, s12, v[0:1]
	s_wait_kmcnt 0x0
	global_load_b32 v20, v26, s[8:9]
	global_load_b32 v0, v[0:1], off
	v_add_nc_u32_e32 v3, s2, v3
	v_mad_co_u64_u32 v[5:6], null, 0x54, s12, v[2:3]
	s_delay_alu instid0(VALU_DEP_1)
	v_add_nc_u32_e32 v6, s2, v6
	s_clause 0x1
	global_load_b32 v18, v26, s[8:9] offset:84
	global_load_b32 v19, v26, s[8:9] offset:168
	s_clause 0x1
	global_load_b32 v1, v[2:3], off
	global_load_b32 v2, v[5:6], off
	v_mul_hi_u32 v3, 0xaaaaaaab, v4
	s_load_b128 s[4:7], s[6:7], 0x0
	s_delay_alu instid0(VALU_DEP_1) | instskip(NEXT) | instid1(VALU_DEP_1)
	v_lshrrev_b32_e32 v3, 3, v3
	v_mul_lo_u32 v3, v3, 12
	s_delay_alu instid0(VALU_DEP_1) | instskip(NEXT) | instid1(VALU_DEP_1)
	v_sub_nc_u32_e32 v3, v4, v3
	v_mul_u32_u24_e32 v3, 63, v3
	s_delay_alu instid0(VALU_DEP_1) | instskip(NEXT) | instid1(VALU_DEP_1)
	v_lshlrev_b32_e32 v25, 2, v3
	v_add_nc_u32_e32 v24, v26, v25
	s_wait_loadcnt 0x5
	v_lshrrev_b32_e32 v23, 16, v20
	s_wait_loadcnt 0x4
	v_lshrrev_b32_e32 v3, 16, v0
	s_delay_alu instid0(VALU_DEP_2) | instskip(NEXT) | instid1(VALU_DEP_2)
	v_mul_f16_e32 v5, v23, v0
	v_mul_f16_e32 v7, v23, v3
	s_delay_alu instid0(VALU_DEP_2) | instskip(NEXT) | instid1(VALU_DEP_2)
	v_fma_f16 v3, v20, v3, -v5
	v_fmac_f16_e32 v7, v20, v0
	s_wait_loadcnt 0x3
	v_lshrrev_b32_e32 v22, 16, v18
	s_wait_loadcnt 0x2
	v_lshrrev_b32_e32 v21, 16, v19
	;; [unrolled: 2-line block ×4, first 2 shown]
	v_mul_f16_e32 v5, v22, v1
	v_mul_f16_e32 v11, v21, v2
	;; [unrolled: 1-line block ×3, first 2 shown]
	s_delay_alu instid0(VALU_DEP_4) | instskip(NEXT) | instid1(VALU_DEP_4)
	v_mul_f16_e32 v12, v21, v9
	v_fma_f16 v0, v18, v6, -v5
	s_delay_alu instid0(VALU_DEP_3) | instskip(SKIP_1) | instid1(VALU_DEP_4)
	v_fmac_f16_e32 v10, v18, v1
	v_fma_f16 v1, v19, v9, -v11
	v_fmac_f16_e32 v12, v19, v2
	v_pack_b32_f16 v2, v7, v3
	v_and_b32_e32 v3, 0xff, v8
	v_pack_b32_f16 v0, v10, v0
	v_mul_lo_u16 v9, v8, 3
	v_pack_b32_f16 v1, v12, v1
	ds_store_2addr_b32 v24, v2, v0 offset1:21
	ds_store_b32 v24, v1 offset:168
	global_wb scope:SCOPE_SE
	s_wait_dscnt 0x0
	s_wait_kmcnt 0x0
	s_barrier_signal -1
	s_barrier_wait -1
	global_inv scope:SCOPE_SE
	ds_load_2addr_b32 v[0:1], v24 offset1:21
	ds_load_b32 v2, v24 offset:168
	v_mul_lo_u16 v3, 0xab, v3
	v_and_b32_e32 v9, 0xffff, v9
	global_wb scope:SCOPE_SE
	s_wait_dscnt 0x0
	s_barrier_signal -1
	s_barrier_wait -1
	v_lshrrev_b16 v3, 9, v3
	v_lshl_add_u32 v27, v9, 2, v25
	global_inv scope:SCOPE_SE
	v_add_co_u32 v11, s2, s8, v26
	v_mul_lo_u16 v5, v3, 3
	s_wait_alu 0xf1ff
	v_add_co_ci_u32_e64 v12, null, s9, 0, s2
	s_delay_alu instid0(VALU_DEP_2) | instskip(SKIP_2) | instid1(VALU_DEP_3)
	v_sub_nc_u16 v7, v8, v5
	v_pk_add_f16 v5, v1, v2
	v_pk_add_f16 v6, v1, v2 neg_lo:[0,1] neg_hi:[0,1]
	v_lshlrev_b16 v10, 1, v7
	v_mad_u16 v3, v3, 9, v7
	s_delay_alu instid0(VALU_DEP_4) | instskip(NEXT) | instid1(VALU_DEP_4)
	v_pk_fma_f16 v5, v5, -0.5, v0 op_sel_hi:[1,0,1]
	v_pk_mul_f16 v6, 0x3aee, v6 op_sel_hi:[0,1]
	s_delay_alu instid0(VALU_DEP_4) | instskip(SKIP_1) | instid1(VALU_DEP_3)
	v_and_b32_e32 v10, 0xfe, v10
	v_pk_add_f16 v0, v0, v1
	v_pk_add_f16 v1, v5, v6 op_sel:[0,1] op_sel_hi:[1,0]
	v_pk_add_f16 v5, v5, v6 op_sel:[0,1] op_sel_hi:[1,0] neg_lo:[0,1] neg_hi:[0,1]
	s_delay_alu instid0(VALU_DEP_4) | instskip(NEXT) | instid1(VALU_DEP_4)
	v_lshlrev_b32_e32 v6, 2, v10
	v_pk_add_f16 v0, v0, v2
	s_delay_alu instid0(VALU_DEP_3)
	v_bfi_b32 v2, 0xffff, v1, v5
	v_bfi_b32 v1, 0xffff, v5, v1
	ds_store_2addr_b32 v27, v0, v2 offset1:1
	ds_store_b32 v27, v1 offset:8
	global_wb scope:SCOPE_SE
	s_wait_dscnt 0x0
	s_barrier_signal -1
	s_barrier_wait -1
	global_inv scope:SCOPE_SE
	global_load_b64 v[5:6], v6, s[10:11]
	ds_load_2addr_b32 v[9:10], v24 offset1:21
	ds_load_b32 v0, v24 offset:168
	global_wb scope:SCOPE_SE
	s_wait_loadcnt_dscnt 0x0
	s_barrier_signal -1
	s_barrier_wait -1
	global_inv scope:SCOPE_SE
	v_lshrrev_b32_e32 v1, 16, v10
	v_lshrrev_b32_e32 v2, 16, v0
	;; [unrolled: 1-line block ×5, first 2 shown]
	s_delay_alu instid0(VALU_DEP_2) | instskip(NEXT) | instid1(VALU_DEP_2)
	v_mul_f16_e32 v8, v1, v35
	v_mul_f16_e32 v13, v2, v36
	;; [unrolled: 1-line block ×4, first 2 shown]
	s_delay_alu instid0(VALU_DEP_4) | instskip(NEXT) | instid1(VALU_DEP_4)
	v_fma_f16 v7, v10, v5, -v8
	v_fma_f16 v0, v0, v6, -v13
	s_delay_alu instid0(VALU_DEP_4) | instskip(NEXT) | instid1(VALU_DEP_4)
	v_fmac_f16_e32 v14, v1, v5
	v_fmac_f16_e32 v15, v2, v6
	v_and_b32_e32 v1, 0xff, v3
	v_add_f16_e32 v3, v9, v7
	v_add_f16_e32 v2, v7, v0
	s_delay_alu instid0(VALU_DEP_4) | instskip(SKIP_2) | instid1(VALU_DEP_4)
	v_add_f16_e32 v8, v14, v15
	v_sub_f16_e32 v10, v14, v15
	v_add_f16_e32 v14, v38, v14
	v_fmac_f16_e32 v9, -0.5, v2
	v_sub_f16_e32 v2, v7, v0
	v_fmac_f16_e32 v38, -0.5, v8
	v_add_f16_e32 v13, v3, v0
	v_add_f16_e32 v37, v14, v15
	v_fmamk_f16 v14, v10, 0x3aee, v9
	v_fmac_f16_e32 v9, 0xbaee, v10
	v_fmamk_f16 v39, v2, 0xbaee, v38
	v_fmac_f16_e32 v38, 0x3aee, v2
	v_lshl_add_u32 v32, v1, 2, v25
	v_pack_b32_f16 v0, v13, v37
	s_delay_alu instid0(VALU_DEP_4) | instskip(NEXT) | instid1(VALU_DEP_4)
	v_pack_b32_f16 v1, v14, v39
	v_pack_b32_f16 v2, v9, v38
	ds_store_2addr_b32 v32, v0, v1 offset1:3
	ds_store_b32 v32, v2 offset:24
	global_wb scope:SCOPE_SE
	s_wait_dscnt 0x0
	s_barrier_signal -1
	s_barrier_wait -1
	global_inv scope:SCOPE_SE
	s_and_saveexec_b32 s2, vcc_lo
	s_cbranch_execz .LBB0_3
; %bb.2:
	ds_load_2addr_b32 v[13:14], v24 offset1:9
	ds_load_2addr_b32 v[9:10], v24 offset0:18 offset1:27
	ds_load_2addr_b32 v[15:16], v24 offset0:36 offset1:45
	ds_load_b32 v41, v24 offset:216
	s_wait_dscnt 0x3
	v_lshrrev_b32_e32 v37, 16, v13
	v_lshrrev_b32_e32 v39, 16, v14
	s_wait_dscnt 0x2
	v_lshrrev_b32_e32 v38, 16, v9
	v_lshrrev_b32_e32 v42, 16, v10
	;; [unrolled: 3-line block ×3, first 2 shown]
	s_wait_dscnt 0x0
	v_lshrrev_b32_e32 v44, 16, v41
.LBB0_3:
	s_wait_alu 0xfffe
	s_or_b32 exec_lo, exec_lo, s2
	v_and_b32_e32 v0, 0xff, v17
	s_delay_alu instid0(VALU_DEP_1) | instskip(NEXT) | instid1(VALU_DEP_1)
	v_mul_lo_u16 v0, v0, 57
	v_lshrrev_b16 v0, 9, v0
	s_delay_alu instid0(VALU_DEP_1) | instskip(NEXT) | instid1(VALU_DEP_1)
	v_mul_lo_u16 v0, v0, 9
	v_sub_nc_u16 v0, v17, v0
	s_delay_alu instid0(VALU_DEP_1) | instskip(NEXT) | instid1(VALU_DEP_1)
	v_mul_lo_u16 v0, v0, 6
	v_and_b32_e32 v0, 0xfe, v0
	s_delay_alu instid0(VALU_DEP_1)
	v_lshlrev_b32_e32 v7, 2, v0
	s_clause 0x1
	global_load_b128 v[0:3], v7, s[10:11] offset:24
	global_load_b64 v[7:8], v7, s[10:11] offset:40
	s_wait_loadcnt 0x1
	v_lshrrev_b32_e32 v33, 16, v0
	v_lshrrev_b32_e32 v30, 16, v1
	s_wait_loadcnt 0x0
	v_lshrrev_b32_e32 v31, 16, v7
	v_lshrrev_b32_e32 v34, 16, v8
	;; [unrolled: 1-line block ×4, first 2 shown]
	v_mul_f16_e32 v45, v39, v33
	v_mul_f16_e32 v46, v14, v33
	v_mul_f16_e32 v47, v38, v30
	v_mul_f16_e32 v48, v9, v30
	v_mul_f16_e32 v53, v40, v31
	v_mul_f16_e32 v54, v16, v31
	v_mul_f16_e32 v55, v44, v34
	v_mul_f16_e32 v56, v41, v34
	v_mul_f16_e32 v49, v42, v28
	v_mul_f16_e32 v50, v10, v28
	v_mul_f16_e32 v51, v43, v29
	v_mul_f16_e32 v52, v15, v29
	v_fma_f16 v14, v14, v0, -v45
	v_fmac_f16_e32 v46, v39, v0
	v_fma_f16 v9, v9, v1, -v47
	v_fmac_f16_e32 v48, v38, v1
	;; [unrolled: 2-line block ×6, first 2 shown]
	v_add_f16_e32 v39, v14, v38
	v_add_f16_e32 v40, v46, v56
	;; [unrolled: 1-line block ×4, first 2 shown]
	v_sub_f16_e32 v14, v14, v38
	v_sub_f16_e32 v38, v46, v56
	;; [unrolled: 1-line block ×4, first 2 shown]
	v_add_f16_e32 v43, v10, v15
	v_add_f16_e32 v44, v50, v52
	v_sub_f16_e32 v10, v15, v10
	v_sub_f16_e32 v15, v52, v50
	v_add_f16_e32 v45, v41, v39
	v_add_f16_e32 v46, v42, v40
	v_sub_f16_e32 v47, v41, v39
	v_sub_f16_e32 v48, v42, v40
	;; [unrolled: 1-line block ×6, first 2 shown]
	v_add_f16_e32 v49, v10, v9
	v_add_f16_e32 v50, v15, v16
	v_sub_f16_e32 v51, v10, v9
	v_sub_f16_e32 v52, v15, v16
	;; [unrolled: 1-line block ×4, first 2 shown]
	v_add_f16_e32 v45, v43, v45
	v_add_f16_e32 v46, v44, v46
	v_sub_f16_e32 v10, v14, v10
	v_sub_f16_e32 v15, v38, v15
	v_add_f16_e32 v14, v49, v14
	v_add_f16_e32 v38, v50, v38
	v_mul_f16_e32 v39, 0x3a52, v39
	v_mul_f16_e32 v43, 0x3a52, v40
	;; [unrolled: 1-line block ×8, first 2 shown]
	v_add_f16_e32 v9, v13, v45
	v_add_f16_e32 v40, v37, v46
	v_fmamk_f16 v13, v41, 0x2b26, v39
	v_fmamk_f16 v37, v42, 0x2b26, v43
	v_fma_f16 v55, v47, 0x39e0, -v44
	v_fma_f16 v49, v48, 0x39e0, -v49
	v_fma_f16 v39, v47, 0xb9e0, -v39
	v_fma_f16 v48, v48, 0xb9e0, -v43
	v_fmamk_f16 v41, v10, 0x3574, v50
	v_fmamk_f16 v42, v15, 0x3574, v51
	v_fma_f16 v50, v53, 0x3b00, -v50
	v_fma_f16 v16, v16, 0x3b00, -v51
	;; [unrolled: 1-line block ×4, first 2 shown]
	v_fmamk_f16 v10, v45, 0xbcab, v9
	v_fmamk_f16 v15, v46, 0xbcab, v40
	v_fmac_f16_e32 v41, 0x370e, v14
	v_fmac_f16_e32 v42, 0x370e, v38
	;; [unrolled: 1-line block ×6, first 2 shown]
	v_add_f16_e32 v45, v13, v10
	v_add_f16_e32 v13, v55, v10
	;; [unrolled: 1-line block ×6, first 2 shown]
	v_sub_f16_e32 v10, v13, v16
	v_add_f16_e32 v15, v50, v14
	v_add_f16_e32 v13, v16, v13
	v_sub_f16_e32 v16, v14, v50
	v_sub_f16_e32 v14, v46, v43
	v_add_f16_e32 v37, v44, v48
	v_sub_f16_e32 v38, v45, v42
	v_add_f16_e32 v39, v41, v47
	s_and_saveexec_b32 s2, vcc_lo
	s_cbranch_execz .LBB0_5
; %bb.4:
	v_sub_f16_e32 v44, v48, v44
	v_sub_f16_e32 v41, v47, v41
	v_add_f16_e32 v42, v42, v45
	v_add_f16_e32 v43, v43, v46
	v_perm_b32 v9, v40, v9, 0x5040100
	v_lshl_add_u32 v40, v17, 2, v25
	v_perm_b32 v45, v37, v14, 0x5040100
	v_pack_b32_f16 v41, v42, v41
	v_pack_b32_f16 v42, v43, v44
	v_perm_b32 v43, v15, v10, 0x5040100
	v_perm_b32 v44, v16, v13, 0x5040100
	;; [unrolled: 1-line block ×3, first 2 shown]
	ds_store_b32 v24, v9
	ds_store_2addr_b32 v40, v41, v42 offset0:9 offset1:18
	ds_store_2addr_b32 v40, v43, v44 offset0:27 offset1:36
	;; [unrolled: 1-line block ×3, first 2 shown]
.LBB0_5:
	s_wait_alu 0xfffe
	s_or_b32 exec_lo, exec_lo, s2
	s_add_nc_u64 s[2:3], s[8:9], 0xfc
	global_wb scope:SCOPE_SE
	s_wait_dscnt 0x0
	s_barrier_signal -1
	s_barrier_wait -1
	global_inv scope:SCOPE_SE
	s_clause 0x2
	global_load_b32 v9, v[11:12], off offset:252
	global_load_b32 v40, v26, s[2:3] offset:84
	global_load_b32 v26, v26, s[2:3] offset:168
	ds_load_2addr_b32 v[11:12], v24 offset1:21
	ds_load_b32 v41, v24 offset:168
	s_wait_dscnt 0x1
	v_lshrrev_b32_e32 v42, 16, v11
	v_lshrrev_b32_e32 v44, 16, v12
	s_wait_dscnt 0x0
	v_lshrrev_b32_e32 v46, 16, v41
	s_wait_loadcnt 0x2
	v_lshrrev_b32_e32 v43, 16, v9
	s_wait_loadcnt 0x1
	;; [unrolled: 2-line block ×3, first 2 shown]
	v_lshrrev_b32_e32 v47, 16, v26
	v_mul_f16_e32 v48, v42, v43
	v_mul_f16_e32 v43, v11, v43
	v_mul_f16_e32 v49, v44, v45
	v_mul_f16_e32 v45, v12, v45
	v_mul_f16_e32 v50, v46, v47
	v_mul_f16_e32 v47, v41, v47
	v_fma_f16 v11, v11, v9, -v48
	v_fmac_f16_e32 v43, v42, v9
	v_fma_f16 v9, v12, v40, -v49
	v_fmac_f16_e32 v45, v44, v40
	v_fma_f16 v12, v41, v26, -v50
	v_fmac_f16_e32 v47, v46, v26
	v_pack_b32_f16 v11, v11, v43
	s_delay_alu instid0(VALU_DEP_4) | instskip(NEXT) | instid1(VALU_DEP_3)
	v_pack_b32_f16 v9, v9, v45
	v_pack_b32_f16 v12, v12, v47
	ds_store_2addr_b32 v24, v11, v9 offset1:21
	ds_store_b32 v24, v12 offset:168
	global_wb scope:SCOPE_SE
	s_wait_dscnt 0x0
	s_barrier_signal -1
	s_barrier_wait -1
	global_inv scope:SCOPE_SE
	ds_load_2addr_b32 v[11:12], v24 offset1:21
	ds_load_b32 v9, v24 offset:168
	global_wb scope:SCOPE_SE
	s_wait_dscnt 0x0
	s_barrier_signal -1
	s_barrier_wait -1
	global_inv scope:SCOPE_SE
	v_pk_add_f16 v26, v12, v9
	v_pk_add_f16 v40, v12, v9 neg_lo:[0,1] neg_hi:[0,1]
	s_delay_alu instid0(VALU_DEP_2) | instskip(NEXT) | instid1(VALU_DEP_2)
	v_pk_fma_f16 v26, v26, -0.5, v11 op_sel_hi:[1,0,1]
	v_pk_mul_f16 v40, 0x3aee, v40 op_sel_hi:[0,1]
	v_pk_add_f16 v11, v11, v12
	s_delay_alu instid0(VALU_DEP_2) | instskip(SKIP_1) | instid1(VALU_DEP_3)
	v_pk_add_f16 v12, v26, v40 op_sel:[0,1] op_sel_hi:[1,0] neg_lo:[0,1] neg_hi:[0,1]
	v_pk_add_f16 v26, v26, v40 op_sel:[0,1] op_sel_hi:[1,0]
	v_pk_add_f16 v9, v11, v9
	s_delay_alu instid0(VALU_DEP_2)
	v_bfi_b32 v11, 0xffff, v12, v26
	v_bfi_b32 v12, 0xffff, v26, v12
	ds_store_2addr_b32 v27, v9, v11 offset1:1
	ds_store_b32 v27, v12 offset:8
	global_wb scope:SCOPE_SE
	s_wait_dscnt 0x0
	s_barrier_signal -1
	s_barrier_wait -1
	global_inv scope:SCOPE_SE
	ds_load_2addr_b32 v[11:12], v24 offset1:21
	ds_load_b32 v9, v24 offset:168
	global_wb scope:SCOPE_SE
	s_wait_dscnt 0x0
	s_barrier_signal -1
	s_barrier_wait -1
	global_inv scope:SCOPE_SE
	v_lshrrev_b32_e32 v26, 16, v12
	v_lshrrev_b32_e32 v27, 16, v9
	v_mul_f16_e32 v40, v35, v12
	v_mul_f16_e32 v41, v36, v9
	s_delay_alu instid0(VALU_DEP_4) | instskip(NEXT) | instid1(VALU_DEP_4)
	v_mul_f16_e32 v35, v35, v26
	v_mul_f16_e32 v36, v36, v27
	s_delay_alu instid0(VALU_DEP_4) | instskip(NEXT) | instid1(VALU_DEP_4)
	v_fma_f16 v40, v5, v26, -v40
	v_fma_f16 v27, v6, v27, -v41
	v_lshrrev_b32_e32 v26, 16, v11
	v_fmac_f16_e32 v35, v5, v12
	v_fmac_f16_e32 v36, v6, v9
	s_delay_alu instid0(VALU_DEP_4) | instskip(NEXT) | instid1(VALU_DEP_4)
	v_add_f16_e32 v5, v40, v27
	v_add_f16_e32 v6, v26, v40
	s_delay_alu instid0(VALU_DEP_4) | instskip(NEXT) | instid1(VALU_DEP_4)
	v_add_f16_e32 v41, v11, v35
	v_add_f16_e32 v9, v35, v36
	v_sub_f16_e32 v35, v35, v36
	v_fmac_f16_e32 v26, -0.5, v5
	v_sub_f16_e32 v40, v40, v27
	v_add_f16_e32 v12, v6, v27
	v_fmac_f16_e32 v11, -0.5, v9
	v_add_f16_e32 v5, v41, v36
	v_fmamk_f16 v27, v35, 0x3aee, v26
	v_fmac_f16_e32 v26, 0xbaee, v35
	s_delay_alu instid0(VALU_DEP_4) | instskip(SKIP_2) | instid1(VALU_DEP_3)
	v_fmamk_f16 v6, v40, 0xbaee, v11
	v_fmac_f16_e32 v11, 0x3aee, v40
	v_pack_b32_f16 v9, v5, v12
	v_pack_b32_f16 v35, v6, v27
	s_delay_alu instid0(VALU_DEP_3)
	v_pack_b32_f16 v36, v11, v26
	ds_store_2addr_b32 v32, v9, v35 offset1:3
	ds_store_b32 v32, v36 offset:24
	global_wb scope:SCOPE_SE
	s_wait_dscnt 0x0
	s_barrier_signal -1
	s_barrier_wait -1
	global_inv scope:SCOPE_SE
	s_and_saveexec_b32 s2, vcc_lo
	s_cbranch_execz .LBB0_7
; %bb.6:
	ds_load_2addr_b32 v[5:6], v24 offset1:9
	ds_load_2addr_b32 v[9:10], v24 offset0:18 offset1:27
	ds_load_2addr_b32 v[13:14], v24 offset0:36 offset1:45
	ds_load_b32 v38, v24 offset:216
	s_wait_dscnt 0x3
	v_lshrrev_b32_e32 v12, 16, v5
	v_lshrrev_b32_e32 v27, 16, v6
	s_wait_dscnt 0x2
	v_lshrrev_b32_e32 v26, 16, v9
	v_lshrrev_b32_e32 v15, 16, v10
	;; [unrolled: 3-line block ×3, first 2 shown]
	s_wait_dscnt 0x0
	v_lshrrev_b32_e32 v39, 16, v38
	v_mov_b32_e32 v11, v9
.LBB0_7:
	s_wait_alu 0xfffe
	s_or_b32 exec_lo, exec_lo, s2
	s_and_saveexec_b32 s2, vcc_lo
	s_cbranch_execz .LBB0_9
; %bb.8:
	v_mul_f16_e32 v9, v33, v27
	v_mul_f16_e32 v35, v28, v15
	;; [unrolled: 1-line block ×5, first 2 shown]
	v_fmac_f16_e32 v9, v0, v6
	v_mul_f16_e32 v6, v33, v6
	v_mul_f16_e32 v41, v34, v39
	v_fmac_f16_e32 v35, v2, v10
	v_fmac_f16_e32 v36, v1, v11
	;; [unrolled: 1-line block ×3, first 2 shown]
	v_mul_f16_e32 v34, v34, v38
	v_mul_f16_e32 v14, v31, v14
	;; [unrolled: 1-line block ×3, first 2 shown]
	v_fma_f16 v0, v0, v27, -v6
	v_mul_f16_e32 v6, v28, v10
	v_mul_f16_e32 v10, v29, v13
	v_fmac_f16_e32 v32, v3, v13
	v_fmac_f16_e32 v41, v8, v38
	v_fma_f16 v8, v8, v39, -v34
	v_fma_f16 v7, v7, v37, -v14
	v_fma_f16 v1, v1, v26, -v11
	v_fma_f16 v2, v2, v15, -v6
	v_fma_f16 v3, v3, v16, -v10
	v_sub_f16_e32 v38, v9, v41
	v_add_f16_e32 v13, v8, v0
	v_add_f16_e32 v6, v7, v1
	;; [unrolled: 1-line block ×6, first 2 shown]
	v_sub_f16_e32 v42, v32, v35
	v_sub_f16_e32 v43, v36, v40
	v_add_f16_e32 v15, v6, v13
	v_sub_f16_e32 v16, v13, v14
	v_add_f16_e32 v28, v26, v9
	v_sub_f16_e32 v30, v9, v27
	v_sub_f16_e32 v2, v3, v2
	;; [unrolled: 1-line block ×5, first 2 shown]
	v_add_f16_e32 v15, v14, v15
	v_sub_f16_e32 v14, v14, v6
	v_mul_f16_e32 v16, 0x3a52, v16
	v_add_f16_e32 v28, v27, v28
	v_mul_f16_e32 v3, 0x3a52, v30
	v_sub_f16_e32 v8, v2, v1
	v_sub_f16_e32 v30, v0, v2
	;; [unrolled: 1-line block ×3, first 2 shown]
	v_add_f16_e32 v2, v2, v1
	v_sub_f16_e32 v6, v6, v13
	v_sub_f16_e32 v1, v1, v0
	v_sub_f16_e32 v7, v27, v26
	v_sub_f16_e32 v33, v38, v42
	v_mul_f16_e32 v34, 0x3846, v44
	v_add_f16_e32 v11, v42, v43
	v_add_f16_e32 v12, v12, v15
	v_mul_f16_e32 v29, 0x2b26, v14
	v_fmamk_f16 v14, v14, 0x2b26, v16
	v_add_f16_e32 v5, v5, v28
	v_mul_f16_e32 v8, 0x3846, v8
	v_mul_f16_e32 v36, 0xbb00, v32
	v_sub_f16_e32 v9, v26, v9
	v_fma_f16 v13, v6, 0xb9e0, -v16
	v_mul_f16_e32 v16, 0xbb00, v1
	v_fmamk_f16 v27, v7, 0x2b26, v3
	v_mul_f16_e32 v7, 0x2b26, v7
	v_fmamk_f16 v10, v33, 0xb574, v34
	v_add_f16_e32 v11, v11, v38
	v_fmamk_f16 v15, v15, 0xbcab, v12
	v_fmamk_f16 v28, v28, 0xbcab, v5
	;; [unrolled: 1-line block ×3, first 2 shown]
	v_add_f16_e32 v0, v2, v0
	v_fma_f16 v2, v33, 0x3574, -v36
	v_fma_f16 v3, v9, 0xb9e0, -v3
	v_fma_f16 v16, v30, 0x3574, -v16
	v_fma_f16 v6, v6, 0x39e0, -v29
	v_fma_f16 v26, v32, 0xbb00, -v34
	v_fma_f16 v1, v1, 0xbb00, -v8
	v_fma_f16 v7, v9, 0x39e0, -v7
	v_fmac_f16_e32 v10, 0xb70e, v11
	v_add_f16_e32 v14, v14, v15
	v_add_f16_e32 v27, v27, v28
	v_fmac_f16_e32 v35, 0xb70e, v0
	v_fmac_f16_e32 v2, 0xb70e, v11
	v_add_f16_e32 v13, v13, v15
	v_add_f16_e32 v3, v3, v28
	v_fmac_f16_e32 v16, 0xb70e, v0
	v_add_f16_e32 v6, v6, v15
	v_fmac_f16_e32 v26, 0xb70e, v11
	v_fmac_f16_e32 v1, 0xb70e, v0
	v_add_f16_e32 v0, v7, v28
	v_add_f16_e32 v31, v10, v14
	;; [unrolled: 1-line block ×3, first 2 shown]
	v_sub_f16_e32 v9, v3, v16
	v_sub_f16_e32 v2, v13, v2
	v_sub_f16_e32 v10, v14, v10
	v_add_f16_e32 v13, v35, v27
	v_add_f16_e32 v3, v16, v3
	v_sub_f16_e32 v11, v6, v26
	v_add_f16_e32 v15, v1, v0
	v_add_f16_e32 v6, v26, v6
	v_sub_f16_e32 v0, v0, v1
	v_sub_f16_e32 v7, v27, v35
	v_pack_b32_f16 v1, v5, v12
	v_lshl_add_u32 v5, v17, 2, v25
	v_pack_b32_f16 v10, v13, v10
	v_pack_b32_f16 v2, v3, v2
	;; [unrolled: 1-line block ×6, first 2 shown]
	ds_store_b32 v24, v1
	ds_store_2addr_b32 v5, v10, v2 offset0:9 offset1:18
	ds_store_2addr_b32 v5, v0, v3 offset0:27 offset1:36
	;; [unrolled: 1-line block ×3, first 2 shown]
.LBB0_9:
	s_wait_alu 0xfffe
	s_or_b32 exec_lo, exec_lo, s2
	global_wb scope:SCOPE_SE
	s_wait_dscnt 0x0
	s_barrier_signal -1
	s_barrier_wait -1
	global_inv scope:SCOPE_SE
	ds_load_2addr_b32 v[0:1], v24 offset1:21
	ds_load_b32 v9, v24 offset:168
	s_mov_b32 s2, 0x10410410
	s_mov_b32 s3, 0x3f904104
	v_mad_co_u64_u32 v[13:14], null, s6, v4, 0
	v_mad_co_u64_u32 v[15:16], null, s4, v17, 0
	s_delay_alu instid0(VALU_DEP_1)
	v_mad_co_u64_u32 v[16:17], null, s5, v17, v[16:17]
	s_wait_dscnt 0x1
	v_lshrrev_b32_e32 v2, 16, v0
	v_mul_f16_e32 v3, v23, v0
	v_lshrrev_b32_e32 v5, 16, v1
	v_mul_f16_e32 v6, v22, v1
	s_wait_dscnt 0x0
	v_lshrrev_b32_e32 v7, 16, v9
	v_mul_f16_e32 v8, v21, v9
	v_fma_f16 v3, v20, v2, -v3
	v_mul_f16_e32 v10, v23, v2
	v_fma_f16 v2, v18, v5, -v6
	;; [unrolled: 2-line block ×3, first 2 shown]
	v_cvt_f32_f16_e32 v3, v3
	v_fmac_f16_e32 v10, v20, v0
	v_cvt_f32_f16_e32 v0, v2
	v_mul_f16_e32 v12, v21, v7
	v_cvt_f32_f16_e32 v8, v6
	v_cvt_f64_f32_e32 v[2:3], v3
	v_cvt_f32_f16_e32 v10, v10
	v_cvt_f64_f32_e32 v[5:6], v0
	v_fmac_f16_e32 v11, v18, v1
	v_cvt_f64_f32_e32 v[0:1], v8
	v_fmac_f16_e32 v12, v19, v9
	v_cvt_f64_f32_e32 v[7:8], v10
	v_mad_co_u64_u32 v[18:19], null, s7, v4, v[14:15]
	v_cvt_f32_f16_e32 v10, v11
	s_delay_alu instid0(VALU_DEP_4) | instskip(SKIP_1) | instid1(VALU_DEP_3)
	v_cvt_f32_f16_e32 v11, v12
	v_lshlrev_b64_e32 v[15:16], 2, v[15:16]
	v_cvt_f64_f32_e32 v[9:10], v10
	s_delay_alu instid0(VALU_DEP_3) | instskip(SKIP_1) | instid1(VALU_DEP_1)
	v_cvt_f64_f32_e32 v[11:12], v11
	v_mov_b32_e32 v14, v18
	v_lshlrev_b64_e32 v[13:14], 2, v[13:14]
	s_delay_alu instid0(VALU_DEP_1) | instskip(SKIP_1) | instid1(VALU_DEP_2)
	v_add_co_u32 v4, vcc_lo, s0, v13
	s_wait_alu 0xfffd
	v_add_co_ci_u32_e32 v14, vcc_lo, s1, v14, vcc_lo
	s_delay_alu instid0(VALU_DEP_2) | instskip(SKIP_1) | instid1(VALU_DEP_2)
	v_add_co_u32 v13, vcc_lo, v4, v15
	s_wait_alu 0xfffd
	v_add_co_ci_u32_e32 v14, vcc_lo, v14, v16, vcc_lo
	s_wait_alu 0xfffe
	v_mul_f64_e32 v[2:3], s[2:3], v[2:3]
	v_mul_f64_e32 v[5:6], s[2:3], v[5:6]
	;; [unrolled: 1-line block ×6, first 2 shown]
	s_mul_i32 s3, s5, 0x54
	v_and_or_b32 v2, 0x1ff, v3, v2
	v_lshrrev_b32_e32 v4, 8, v3
	v_and_or_b32 v5, 0x1ff, v6, v5
	v_bfe_u32 v15, v3, 20, 11
	v_lshrrev_b32_e32 v16, 8, v6
	v_cmp_ne_u32_e32 vcc_lo, 0, v2
	v_and_or_b32 v7, 0x1ff, v8, v7
	v_lshrrev_b32_e32 v18, 8, v8
	v_bfe_u32 v19, v8, 20, 11
	v_bfe_u32 v17, v6, 20, 11
	s_wait_alu 0xfffd
	v_cndmask_b32_e64 v2, 0, 1, vcc_lo
	v_cmp_ne_u32_e32 vcc_lo, 0, v5
	v_sub_nc_u32_e32 v20, 0x3f1, v15
	v_add_nc_u32_e32 v15, 0xfffffc10, v15
	v_and_or_b32 v9, 0x1ff, v10, v9
	v_and_or_b32 v11, 0x1ff, v12, v11
	s_wait_alu 0xfffd
	v_cndmask_b32_e64 v5, 0, 1, vcc_lo
	v_cmp_ne_u32_e32 vcc_lo, 0, v7
	v_and_or_b32 v2, 0xffe, v4, v2
	v_sub_nc_u32_e32 v26, 0x3f1, v19
	v_lshrrev_b32_e32 v21, 8, v10
	v_sub_nc_u32_e32 v23, 0x3f1, v17
	s_wait_alu 0xfffd
	v_cndmask_b32_e64 v7, 0, 1, vcc_lo
	v_cmp_ne_u32_e32 vcc_lo, 0, v9
	v_lshrrev_b32_e32 v24, 8, v12
	v_add_nc_u32_e32 v19, 0xfffffc10, v19
	v_med3_i32 v4, v20, 0, 13
	v_and_or_b32 v7, 0xffe, v18, v7
	s_wait_alu 0xfffd
	v_cndmask_b32_e64 v9, 0, 1, vcc_lo
	v_cmp_ne_u32_e32 vcc_lo, 0, v11
	v_and_or_b32 v5, 0xffe, v16, v5
	v_med3_i32 v18, v26, 0, 13
	v_or_b32_e32 v26, 0x1000, v2
	v_lshl_or_b32 v27, v15, 12, v2
	s_wait_alu 0xfffd
	v_cndmask_b32_e64 v11, 0, 1, vcc_lo
	v_cmp_ne_u32_e32 vcc_lo, 0, v2
	v_bfe_u32 v22, v10, 20, 11
	v_med3_i32 v16, v23, 0, 13
	v_and_or_b32 v9, 0xffe, v21, v9
	v_or_b32_e32 v21, 0x1000, v5
	s_wait_alu 0xfffd
	v_cndmask_b32_e64 v2, 0, 1, vcc_lo
	v_cmp_ne_u32_e32 vcc_lo, 0, v7
	v_and_or_b32 v11, 0xffe, v24, v11
	v_or_b32_e32 v24, 0x1000, v7
	v_lshl_or_b32 v29, v19, 12, v7
	v_lshrrev_b32_e32 v30, v4, v26
	s_wait_alu 0xfffd
	v_cndmask_b32_e64 v7, 0, 1, vcc_lo
	v_sub_nc_u32_e32 v20, 0x3f1, v22
	v_cmp_ne_u32_e32 vcc_lo, 0, v9
	v_lshrrev_b32_e32 v33, v16, v21
	v_lshlrev_b32_e32 v4, v4, v30
	v_lshl_or_b32 v7, v7, 9, 0x7c00
	v_add_nc_u32_e32 v22, 0xfffffc10, v22
	v_med3_i32 v20, v20, 0, 13
	v_or_b32_e32 v31, 0x1000, v9
	v_lshrrev_b32_e32 v35, v18, v24
	v_lshlrev_b32_e32 v16, v16, v33
	v_lshl_or_b32 v32, v22, 12, v9
	s_wait_alu 0xfffd
	v_cndmask_b32_e64 v9, 0, 1, vcc_lo
	v_cmp_ne_u32_e32 vcc_lo, v4, v26
	v_lshrrev_b32_e32 v36, v20, v31
	v_lshlrev_b32_e32 v18, v18, v35
	v_lshl_or_b32 v2, v2, 9, 0x7c00
	v_lshrrev_b32_e32 v3, 16, v3
	s_wait_alu 0xfffd
	v_cndmask_b32_e64 v4, 0, 1, vcc_lo
	v_cmp_ne_u32_e32 vcc_lo, v16, v21
	v_lshlrev_b32_e32 v20, v20, v36
	v_and_or_b32 v0, 0x1ff, v1, v0
	v_lshrrev_b32_e32 v8, 16, v8
	v_or_b32_e32 v4, v30, v4
	s_wait_alu 0xfffd
	v_cndmask_b32_e64 v16, 0, 1, vcc_lo
	v_cmp_ne_u32_e32 vcc_lo, v18, v24
	v_bfe_u32 v25, v12, 20, 11
	v_lshl_or_b32 v9, v9, 9, 0x7c00
	v_or_b32_e32 v34, 0x1000, v11
	v_or_b32_e32 v16, v33, v16
	s_wait_alu 0xfffd
	v_cndmask_b32_e64 v18, 0, 1, vcc_lo
	v_cmp_ne_u32_e32 vcc_lo, v20, v31
	v_sub_nc_u32_e32 v23, 0x3f1, v25
	v_lshrrev_b32_e32 v10, 16, v10
	v_lshrrev_b32_e32 v6, 16, v6
	v_or_b32_e32 v18, v35, v18
	s_wait_alu 0xfffd
	v_cndmask_b32_e64 v20, 0, 1, vcc_lo
	v_cmp_gt_i32_e32 vcc_lo, 1, v15
	v_add_nc_u32_e32 v17, 0xfffffc10, v17
	s_delay_alu instid0(VALU_DEP_3) | instskip(SKIP_2) | instid1(VALU_DEP_3)
	v_or_b32_e32 v20, v36, v20
	s_wait_alu 0xfffd
	v_cndmask_b32_e32 v4, v27, v4, vcc_lo
	v_lshl_or_b32 v28, v17, 12, v5
	v_cmp_gt_i32_e32 vcc_lo, 1, v17
	s_delay_alu instid0(VALU_DEP_3)
	v_and_b32_e32 v21, 7, v4
	v_lshrrev_b32_e32 v4, 2, v4
	s_wait_alu 0xfffd
	v_cndmask_b32_e32 v16, v28, v16, vcc_lo
	v_cmp_gt_i32_e32 vcc_lo, 1, v19
	v_cmp_eq_u32_e64 s0, 3, v21
	s_wait_alu 0xfffd
	v_cndmask_b32_e32 v18, v29, v18, vcc_lo
	v_cmp_gt_i32_e32 vcc_lo, 1, v22
	s_delay_alu instid0(VALU_DEP_2)
	v_and_b32_e32 v24, 7, v18
	s_wait_alu 0xfffd
	v_cndmask_b32_e32 v20, v32, v20, vcc_lo
	v_cmp_lt_i32_e32 vcc_lo, 5, v21
	v_lshrrev_b32_e32 v18, 2, v18
	v_cmp_lt_i32_e64 s1, 5, v24
	v_cmp_eq_u32_e64 s2, 3, v24
	s_or_b32 vcc_lo, s0, vcc_lo
	s_wait_alu 0xfffe
	v_add_co_ci_u32_e32 v4, vcc_lo, 0, v4, vcc_lo
	s_delay_alu instid0(VALU_DEP_2) | instskip(SKIP_4) | instid1(VALU_DEP_2)
	s_or_b32 s0, s2, s1
	v_cmp_gt_i32_e64 s1, 31, v15
	s_wait_alu 0xfffe
	v_add_co_ci_u32_e64 v18, s0, 0, v18, s0
	s_wait_alu 0xf1ff
	v_cndmask_b32_e64 v4, 0x7c00, v4, s1
	v_and_b32_e32 v21, 7, v20
	v_lshrrev_b32_e32 v20, 2, v20
	v_cmp_gt_i32_e64 s1, 31, v19
	s_delay_alu instid0(VALU_DEP_3) | instskip(SKIP_2) | instid1(VALU_DEP_3)
	v_cmp_lt_i32_e32 vcc_lo, 5, v21
	v_cmp_eq_u32_e64 s0, 3, v21
	s_wait_alu 0xf1ff
	v_cndmask_b32_e64 v18, 0x7c00, v18, s1
	s_delay_alu instid0(VALU_DEP_2)
	s_or_b32 vcc_lo, s0, vcc_lo
	s_wait_alu 0xfffe
	v_add_co_ci_u32_e32 v20, vcc_lo, 0, v20, vcc_lo
	v_cmp_eq_u32_e32 vcc_lo, 0x40f, v19
	s_wait_alu 0xfffd
	v_cndmask_b32_e32 v7, v18, v7, vcc_lo
	v_cmp_eq_u32_e32 vcc_lo, 0x40f, v15
	s_delay_alu instid0(VALU_DEP_2) | instskip(SKIP_4) | instid1(VALU_DEP_3)
	v_and_or_b32 v7, 0x8000, v8, v7
	s_wait_alu 0xfffd
	v_cndmask_b32_e32 v2, v4, v2, vcc_lo
	v_cmp_gt_i32_e32 vcc_lo, 31, v22
	v_and_b32_e32 v8, 7, v16
	v_and_or_b32 v15, 0x8000, v3, v2
	s_wait_alu 0xfffd
	v_cndmask_b32_e32 v4, 0x7c00, v20, vcc_lo
	v_cmp_eq_u32_e32 vcc_lo, 0x40f, v22
	v_lshrrev_b32_e32 v3, 8, v1
	v_cmp_eq_u32_e64 s0, 3, v8
	v_add_nc_u32_e32 v20, 0xfffffc10, v25
	s_wait_alu 0xfffd
	v_cndmask_b32_e32 v2, v4, v9, vcc_lo
	v_cmp_ne_u32_e32 vcc_lo, 0, v0
	v_and_b32_e32 v4, 0xffff, v7
	v_bfe_u32 v7, v1, 20, 11
	v_med3_i32 v9, v23, 0, 13
	s_wait_alu 0xfffd
	v_cndmask_b32_e64 v0, 0, 1, vcc_lo
	v_cmp_lt_i32_e32 vcc_lo, 5, v8
	v_lshrrev_b32_e32 v8, 2, v16
	v_lshrrev_b32_e32 v18, v9, v34
	s_delay_alu instid0(VALU_DEP_4) | instskip(SKIP_2) | instid1(VALU_DEP_3)
	v_and_or_b32 v0, 0xffe, v3, v0
	v_sub_nc_u32_e32 v3, 0x3f1, v7
	s_or_b32 vcc_lo, s0, vcc_lo
	v_lshlrev_b32_e32 v9, v9, v18
	s_wait_alu 0xfffe
	v_add_co_ci_u32_e32 v8, vcc_lo, 0, v8, vcc_lo
	v_or_b32_e32 v16, 0x1000, v0
	v_med3_i32 v3, v3, 0, 13
	v_cmp_ne_u32_e32 vcc_lo, 0, v5
	v_add_nc_u32_e32 v7, 0xfffffc10, v7
	v_and_or_b32 v10, 0x8000, v10, v2
	s_delay_alu instid0(VALU_DEP_4) | instskip(SKIP_3) | instid1(VALU_DEP_3)
	v_lshrrev_b32_e32 v19, v3, v16
	s_wait_alu 0xfffd
	v_cndmask_b32_e64 v5, 0, 1, vcc_lo
	v_cmp_ne_u32_e32 vcc_lo, v9, v34
	v_lshlrev_b32_e32 v3, v3, v19
	s_delay_alu instid0(VALU_DEP_3) | instskip(SKIP_3) | instid1(VALU_DEP_2)
	v_lshl_or_b32 v5, v5, 9, 0x7c00
	s_wait_alu 0xfffd
	v_cndmask_b32_e64 v9, 0, 1, vcc_lo
	v_cmp_gt_i32_e32 vcc_lo, 31, v17
	v_or_b32_e32 v9, v18, v9
	s_wait_alu 0xfffd
	v_cndmask_b32_e32 v8, 0x7c00, v8, vcc_lo
	v_cmp_ne_u32_e32 vcc_lo, v3, v16
	v_lshl_or_b32 v16, v20, 12, v11
	s_wait_alu 0xfffd
	v_cndmask_b32_e64 v3, 0, 1, vcc_lo
	v_cmp_eq_u32_e32 vcc_lo, 0x40f, v17
	s_delay_alu instid0(VALU_DEP_2) | instskip(SKIP_4) | instid1(VALU_DEP_3)
	v_or_b32_e32 v3, v19, v3
	s_wait_alu 0xfffd
	v_cndmask_b32_e32 v5, v8, v5, vcc_lo
	v_cmp_gt_i32_e32 vcc_lo, 1, v20
	v_lshl_or_b32 v8, v7, 12, v0
	v_and_or_b32 v5, 0x8000, v6, v5
	s_wait_alu 0xfffd
	v_cndmask_b32_e32 v9, v16, v9, vcc_lo
	v_cmp_gt_i32_e32 vcc_lo, 1, v7
	s_delay_alu instid0(VALU_DEP_2)
	v_and_b32_e32 v16, 7, v9
	s_wait_alu 0xfffd
	v_cndmask_b32_e32 v8, v8, v3, vcc_lo
	v_lshrrev_b32_e32 v9, 2, v9
	v_mad_co_u64_u32 v[2:3], null, 0x54, s4, v[13:14]
	v_cmp_lt_i32_e32 vcc_lo, 5, v16
	v_cmp_eq_u32_e64 s0, 3, v16
	v_and_b32_e32 v6, 7, v8
	v_lshrrev_b32_e32 v8, 2, v8
	s_delay_alu instid0(VALU_DEP_3) | instskip(NEXT) | instid1(VALU_DEP_2)
	s_or_b32 vcc_lo, s0, vcc_lo
	v_cmp_lt_i32_e64 s1, 5, v6
	v_cmp_eq_u32_e64 s2, 3, v6
	s_wait_alu 0xfffe
	v_add_co_ci_u32_e32 v6, vcc_lo, 0, v9, vcc_lo
	v_cmp_ne_u32_e32 vcc_lo, 0, v11
	v_add_nc_u32_e32 v3, s3, v3
	s_wait_alu 0xfffd
	v_cndmask_b32_e64 v9, 0, 1, vcc_lo
	s_or_b32 vcc_lo, s2, s1
	s_wait_alu 0xfffe
	v_add_co_ci_u32_e32 v8, vcc_lo, 0, v8, vcc_lo
	v_cmp_ne_u32_e32 vcc_lo, 0, v0
	v_lshl_or_b32 v9, v9, 9, 0x7c00
	s_wait_alu 0xfffd
	v_cndmask_b32_e64 v0, 0, 1, vcc_lo
	v_cmp_gt_i32_e32 vcc_lo, 31, v20
	s_delay_alu instid0(VALU_DEP_2)
	v_lshl_or_b32 v0, v0, 9, 0x7c00
	s_wait_alu 0xfffd
	v_cndmask_b32_e32 v6, 0x7c00, v6, vcc_lo
	v_cmp_gt_i32_e32 vcc_lo, 31, v7
	s_wait_alu 0xfffd
	v_cndmask_b32_e32 v8, 0x7c00, v8, vcc_lo
	v_cmp_eq_u32_e32 vcc_lo, 0x40f, v20
	s_wait_alu 0xfffd
	v_cndmask_b32_e32 v6, v6, v9, vcc_lo
	v_lshrrev_b32_e32 v9, 16, v12
	v_cmp_eq_u32_e32 vcc_lo, 0x40f, v7
	s_delay_alu instid0(VALU_DEP_2)
	v_and_or_b32 v6, 0x8000, v9, v6
	s_wait_alu 0xfffd
	v_cndmask_b32_e32 v7, v8, v0, vcc_lo
	v_lshrrev_b32_e32 v8, 16, v1
	v_mad_co_u64_u32 v[0:1], null, 0x54, s4, v[2:3]
	v_and_b32_e32 v9, 0xffff, v10
	v_and_b32_e32 v6, 0xffff, v6
	s_delay_alu instid0(VALU_DEP_4) | instskip(SKIP_1) | instid1(VALU_DEP_4)
	v_and_or_b32 v7, 0x8000, v8, v7
	v_lshl_or_b32 v4, v15, 16, v4
	v_lshl_or_b32 v5, v5, 16, v9
	v_add_nc_u32_e32 v1, s3, v1
	s_delay_alu instid0(VALU_DEP_4)
	v_lshl_or_b32 v6, v7, 16, v6
	s_clause 0x2
	global_store_b32 v[13:14], v4, off
	global_store_b32 v[2:3], v5, off
	;; [unrolled: 1-line block ×3, first 2 shown]
.LBB0_10:
	s_nop 0
	s_sendmsg sendmsg(MSG_DEALLOC_VGPRS)
	s_endpgm
	.section	.rodata,"a",@progbits
	.p2align	6, 0x0
	.amdhsa_kernel bluestein_single_back_len63_dim1_half_op_CI_CI
		.amdhsa_group_segment_fixed_size 3024
		.amdhsa_private_segment_fixed_size 0
		.amdhsa_kernarg_size 104
		.amdhsa_user_sgpr_count 2
		.amdhsa_user_sgpr_dispatch_ptr 0
		.amdhsa_user_sgpr_queue_ptr 0
		.amdhsa_user_sgpr_kernarg_segment_ptr 1
		.amdhsa_user_sgpr_dispatch_id 0
		.amdhsa_user_sgpr_private_segment_size 0
		.amdhsa_wavefront_size32 1
		.amdhsa_uses_dynamic_stack 0
		.amdhsa_enable_private_segment 0
		.amdhsa_system_sgpr_workgroup_id_x 1
		.amdhsa_system_sgpr_workgroup_id_y 0
		.amdhsa_system_sgpr_workgroup_id_z 0
		.amdhsa_system_sgpr_workgroup_info 0
		.amdhsa_system_vgpr_workitem_id 0
		.amdhsa_next_free_vgpr 57
		.amdhsa_next_free_sgpr 16
		.amdhsa_reserve_vcc 1
		.amdhsa_float_round_mode_32 0
		.amdhsa_float_round_mode_16_64 0
		.amdhsa_float_denorm_mode_32 3
		.amdhsa_float_denorm_mode_16_64 3
		.amdhsa_fp16_overflow 0
		.amdhsa_workgroup_processor_mode 1
		.amdhsa_memory_ordered 1
		.amdhsa_forward_progress 0
		.amdhsa_round_robin_scheduling 0
		.amdhsa_exception_fp_ieee_invalid_op 0
		.amdhsa_exception_fp_denorm_src 0
		.amdhsa_exception_fp_ieee_div_zero 0
		.amdhsa_exception_fp_ieee_overflow 0
		.amdhsa_exception_fp_ieee_underflow 0
		.amdhsa_exception_fp_ieee_inexact 0
		.amdhsa_exception_int_div_zero 0
	.end_amdhsa_kernel
	.text
.Lfunc_end0:
	.size	bluestein_single_back_len63_dim1_half_op_CI_CI, .Lfunc_end0-bluestein_single_back_len63_dim1_half_op_CI_CI
                                        ; -- End function
	.section	.AMDGPU.csdata,"",@progbits
; Kernel info:
; codeLenInByte = 5772
; NumSgprs: 18
; NumVgprs: 57
; ScratchSize: 0
; MemoryBound: 0
; FloatMode: 240
; IeeeMode: 1
; LDSByteSize: 3024 bytes/workgroup (compile time only)
; SGPRBlocks: 2
; VGPRBlocks: 7
; NumSGPRsForWavesPerEU: 18
; NumVGPRsForWavesPerEU: 57
; Occupancy: 16
; WaveLimiterHint : 1
; COMPUTE_PGM_RSRC2:SCRATCH_EN: 0
; COMPUTE_PGM_RSRC2:USER_SGPR: 2
; COMPUTE_PGM_RSRC2:TRAP_HANDLER: 0
; COMPUTE_PGM_RSRC2:TGID_X_EN: 1
; COMPUTE_PGM_RSRC2:TGID_Y_EN: 0
; COMPUTE_PGM_RSRC2:TGID_Z_EN: 0
; COMPUTE_PGM_RSRC2:TIDIG_COMP_CNT: 0
	.text
	.p2alignl 7, 3214868480
	.fill 96, 4, 3214868480
	.type	__hip_cuid_5386540ab4eff7e7,@object ; @__hip_cuid_5386540ab4eff7e7
	.section	.bss,"aw",@nobits
	.globl	__hip_cuid_5386540ab4eff7e7
__hip_cuid_5386540ab4eff7e7:
	.byte	0                               ; 0x0
	.size	__hip_cuid_5386540ab4eff7e7, 1

	.ident	"AMD clang version 19.0.0git (https://github.com/RadeonOpenCompute/llvm-project roc-6.4.0 25133 c7fe45cf4b819c5991fe208aaa96edf142730f1d)"
	.section	".note.GNU-stack","",@progbits
	.addrsig
	.addrsig_sym __hip_cuid_5386540ab4eff7e7
	.amdgpu_metadata
---
amdhsa.kernels:
  - .args:
      - .actual_access:  read_only
        .address_space:  global
        .offset:         0
        .size:           8
        .value_kind:     global_buffer
      - .actual_access:  read_only
        .address_space:  global
        .offset:         8
        .size:           8
        .value_kind:     global_buffer
      - .actual_access:  read_only
        .address_space:  global
        .offset:         16
        .size:           8
        .value_kind:     global_buffer
      - .actual_access:  read_only
        .address_space:  global
        .offset:         24
        .size:           8
        .value_kind:     global_buffer
      - .actual_access:  read_only
        .address_space:  global
        .offset:         32
        .size:           8
        .value_kind:     global_buffer
      - .offset:         40
        .size:           8
        .value_kind:     by_value
      - .address_space:  global
        .offset:         48
        .size:           8
        .value_kind:     global_buffer
      - .address_space:  global
        .offset:         56
        .size:           8
        .value_kind:     global_buffer
      - .address_space:  global
        .offset:         64
        .size:           8
        .value_kind:     global_buffer
      - .address_space:  global
        .offset:         72
        .size:           8
        .value_kind:     global_buffer
      - .offset:         80
        .size:           4
        .value_kind:     by_value
      - .address_space:  global
        .offset:         88
        .size:           8
        .value_kind:     global_buffer
      - .address_space:  global
        .offset:         96
        .size:           8
        .value_kind:     global_buffer
    .group_segment_fixed_size: 3024
    .kernarg_segment_align: 8
    .kernarg_segment_size: 104
    .language:       OpenCL C
    .language_version:
      - 2
      - 0
    .max_flat_workgroup_size: 252
    .name:           bluestein_single_back_len63_dim1_half_op_CI_CI
    .private_segment_fixed_size: 0
    .sgpr_count:     18
    .sgpr_spill_count: 0
    .symbol:         bluestein_single_back_len63_dim1_half_op_CI_CI.kd
    .uniform_work_group_size: 1
    .uses_dynamic_stack: false
    .vgpr_count:     57
    .vgpr_spill_count: 0
    .wavefront_size: 32
    .workgroup_processor_mode: 1
amdhsa.target:   amdgcn-amd-amdhsa--gfx1201
amdhsa.version:
  - 1
  - 2
...

	.end_amdgpu_metadata
